;; amdgpu-corpus repo=zjin-lcf/HeCBench kind=compiled arch=gfx90a opt=O3
	.text
	.amdgcn_target "amdgcn-amd-amdhsa--gfx90a"
	.amdhsa_code_object_version 6
	.protected	_Z15gaussian_kernelPKhPhii ; -- Begin function _Z15gaussian_kernelPKhPhii
	.globl	_Z15gaussian_kernelPKhPhii
	.p2align	8
	.type	_Z15gaussian_kernelPKhPhii,@function
_Z15gaussian_kernelPKhPhii:             ; @_Z15gaussian_kernelPKhPhii
; %bb.0:
	s_load_dwordx2 s[0:1], s[4:5], 0x0
	s_load_dword s16, s[4:5], 0x14
	s_load_dword s2, s[4:5], 0x24
	v_bfe_u32 v9, v0, 10, 10
	v_add_u32_e32 v6, 1, v9
	v_and_b32_e32 v10, 0x3ff, v0
	v_add_u32_e32 v12, 1, v10
	s_waitcnt lgkmcnt(0)
	s_lshr_b32 s3, s2, 16
	s_mul_i32 s7, s7, s3
	s_and_b32 s15, s2, 0xffff
	v_add_u32_e32 v0, s7, v6
	s_mul_i32 s6, s6, s15
	v_mul_lo_u32 v0, v0, s16
	v_add3_u32 v0, s6, v12, v0
	v_ashrrev_i32_e32 v1, 31, v0
	v_mov_b32_e32 v3, s1
	v_add_co_u32_e32 v2, vcc, s0, v0
	v_addc_co_u32_e32 v3, vcc, v3, v1, vcc
	global_load_ubyte v4, v[2:3], off
	s_add_i32 s14, s15, 2
	v_mul_u32_u24_e32 v8, s14, v6
	v_lshl_add_u32 v11, v8, 2, 0
	v_cmp_ne_u32_e32 vcc, 0, v9
	v_lshl_add_u32 v5, v12, 2, v11
	s_mov_b64 s[6:7], 0
                                        ; implicit-def: $vgpr13
	s_waitcnt vmcnt(0)
	ds_write_b32 v5, v4
                                        ; implicit-def: $vgpr4_vgpr5
	s_and_saveexec_b64 s[2:3], vcc
	s_xor_b64 s[2:3], exec, s[2:3]
	s_cbranch_execnz .LBB0_11
; %bb.1:
	s_andn2_saveexec_b64 s[2:3], s[2:3]
	s_cbranch_execnz .LBB0_20
.LBB0_2:
	s_or_b64 exec, exec, s[2:3]
	s_and_saveexec_b64 s[0:1], s[6:7]
	s_cbranch_execz .LBB0_4
.LBB0_3:
	global_load_ubyte v4, v[4:5], off
	s_waitcnt vmcnt(0)
	ds_write_b32 v13, v4
.LBB0_4:
	s_or_b64 exec, exec, s[0:1]
	s_load_dwordx2 s[8:9], s[4:5], 0x8
	v_cmp_ne_u32_e32 vcc, 0, v10
	s_mov_b64 s[2:3], -1
	v_pk_mov_b32 v[4:5], -1, -1
	s_and_saveexec_b64 s[0:1], vcc
	s_cbranch_execz .LBB0_8
; %bb.5:
	v_cmp_eq_u32_e32 vcc, s15, v12
	s_mov_b64 s[2:3], 0
	v_pk_mov_b32 v[4:5], -1, -1
	s_and_saveexec_b64 s[4:5], vcc
; %bb.6:
	s_lshl_b32 s6, s15, 2
	v_mov_b32_e32 v4, 1
	s_mov_b64 s[2:3], exec
	v_add3_u32 v11, v11, s6, 4
	v_mov_b32_e32 v5, 0
; %bb.7:
	s_or_b64 exec, exec, s[4:5]
	s_orn2_b64 s[2:3], s[2:3], exec
.LBB0_8:
	s_or_b64 exec, exec, s[0:1]
	s_and_saveexec_b64 s[0:1], s[2:3]
	s_cbranch_execz .LBB0_10
; %bb.9:
	v_add_co_u32_e32 v2, vcc, v2, v4
	v_addc_co_u32_e32 v3, vcc, v3, v5, vcc
	global_load_ubyte v2, v[2:3], off
	s_waitcnt vmcnt(0)
	ds_write_b32 v11, v2
.LBB0_10:
	s_or_b64 exec, exec, s[0:1]
	v_lshl_add_u32 v4, v10, 2, 0
	v_mul_u32_u24_e32 v2, s14, v9
	v_lshl_add_u32 v5, v2, 2, v4
	s_waitcnt lgkmcnt(0)
	s_barrier
	ds_read2_b32 v[2:3], v5 offset1:1
	ds_read_b32 v6, v5 offset:8
	s_getpc_b64 s[10:11]
	s_add_u32 s10, s10, c_gaus@rel32@lo+4
	s_addc_u32 s11, s11, c_gaus@rel32@hi+12
	s_load_dwordx8 s[0:7], s[10:11], 0x0
	v_lshl_add_u32 v4, v8, 2, v4
	s_waitcnt lgkmcnt(0)
	v_cvt_f32_i32_e32 v2, v2
	v_cvt_f32_i32_e32 v3, v3
	v_lshl_add_u32 v7, s14, 3, v5
	v_add_co_u32_e32 v0, vcc, s8, v0
	v_fma_f32 v2, s0, v2, 0
	v_cvt_i32_f32_e32 v2, v2
	s_load_dword s0, s[10:11], 0x20
	v_cvt_f32_i32_e32 v2, v2
	v_fmac_f32_e32 v2, s1, v3
	v_cvt_i32_f32_e32 v2, v2
	v_cvt_f32_i32_e32 v3, v6
	v_cvt_f32_i32_e32 v6, v2
	v_fmac_f32_e32 v6, s2, v3
	ds_read2_b32 v[2:3], v4 offset1:1
	v_cvt_i32_f32_e32 v6, v6
	ds_read_b32 v8, v4 offset:8
	ds_read2_b32 v[4:5], v7 offset1:1
	ds_read_b32 v7, v7 offset:8
	s_waitcnt lgkmcnt(0)
	v_cvt_f32_i32_e32 v2, v2
	v_cvt_f32_i32_e32 v6, v6
	;; [unrolled: 1-line block ×3, first 2 shown]
	v_fmac_f32_e32 v6, s3, v2
	v_cvt_i32_f32_e32 v2, v6
	v_cvt_f32_i32_e32 v2, v2
	v_fmac_f32_e32 v2, s4, v3
	v_cvt_i32_f32_e32 v2, v2
	v_cvt_f32_i32_e32 v3, v8
	v_cvt_f32_i32_e32 v2, v2
	v_fmac_f32_e32 v2, s5, v3
	v_cvt_i32_f32_e32 v2, v2
	v_cvt_f32_i32_e32 v3, v4
	v_mov_b32_e32 v4, s9
	v_addc_co_u32_e32 v1, vcc, v4, v1, vcc
	v_cvt_f32_i32_e32 v2, v2
	v_fmac_f32_e32 v2, s6, v3
	v_cvt_i32_f32_e32 v2, v2
	v_cvt_f32_i32_e32 v3, v5
	v_cvt_f32_i32_e32 v2, v2
	v_fmac_f32_e32 v2, s7, v3
	v_cvt_i32_f32_e32 v2, v2
	v_cvt_f32_i32_e32 v3, v7
	v_cvt_f32_i32_e32 v2, v2
	v_fmac_f32_e32 v2, s0, v3
	v_cvt_i32_f32_e32 v2, v2
	v_mov_b32_e32 v3, 0xff
	v_med3_i32 v2, v2, 0, v3
	global_store_byte v[0:1], v2, off
	s_endpgm
.LBB0_11:
	v_cmp_eq_u32_e32 vcc, s15, v6
	s_mov_b64 s[8:9], 0
                                        ; implicit-def: $vgpr13
                                        ; implicit-def: $vgpr4_vgpr5
	s_and_saveexec_b64 s[6:7], vcc
	s_cbranch_execz .LBB0_19
; %bb.12:
	s_ashr_i32 s8, s16, 31
	v_mov_b32_e32 v4, s8
	v_add_co_u32_e32 v6, vcc, s16, v2
	v_addc_co_u32_e32 v7, vcc, v3, v4, vcc
	global_load_ubyte v4, v[6:7], off
	s_add_i32 s8, s15, 1
	s_mul_i32 s8, s8, s14
	s_lshl_b32 s8, s8, 2
	s_add_i32 s17, s8, 0
	v_cmp_ne_u32_e32 vcc, 0, v10
	v_lshl_add_u32 v5, v12, 2, s17
	s_mov_b64 s[8:9], 0
                                        ; implicit-def: $sgpr18
	s_waitcnt vmcnt(0)
	ds_write_b32 v5, v4
                                        ; implicit-def: $vgpr4_vgpr5
	s_and_saveexec_b64 s[10:11], vcc
	s_xor_b64 s[10:11], exec, s[10:11]
	s_cbranch_execz .LBB0_16
; %bb.13:
	v_cmp_eq_u32_e32 vcc, s15, v12
                                        ; implicit-def: $sgpr18
                                        ; implicit-def: $vgpr4_vgpr5
	s_and_saveexec_b64 s[12:13], vcc
	s_xor_b64 s[12:13], exec, s[12:13]
; %bb.14:
	s_lshl_b32 s18, s15, 2
	s_add_i32 s18, s17, s18
	v_add_co_u32_e32 v4, vcc, 1, v6
	s_mov_b64 s[8:9], exec
	s_add_i32 s18, s18, 4
	v_addc_co_u32_e32 v5, vcc, 0, v7, vcc
; %bb.15:
	s_or_b64 exec, exec, s[12:13]
	s_and_b64 s[8:9], s[8:9], exec
                                        ; implicit-def: $vgpr6
.LBB0_16:
	s_or_saveexec_b64 s[10:11], s[10:11]
	v_mov_b32_e32 v13, s18
	s_xor_b64 exec, exec, s[10:11]
; %bb.17:
	v_add_co_u32_e32 v4, vcc, -1, v6
	v_addc_co_u32_e32 v5, vcc, -1, v7, vcc
	v_mov_b32_e32 v13, s17
	s_or_b64 s[8:9], s[8:9], exec
; %bb.18:
	s_or_b64 exec, exec, s[10:11]
	s_and_b64 s[8:9], s[8:9], exec
.LBB0_19:
	s_or_b64 exec, exec, s[6:7]
	s_and_b64 s[6:7], s[8:9], exec
	s_andn2_saveexec_b64 s[2:3], s[2:3]
	s_cbranch_execz .LBB0_2
.LBB0_20:
	v_subrev_u32_e32 v4, s16, v0
	v_ashrrev_i32_e32 v5, 31, v4
	v_mov_b32_e32 v7, s1
	v_add_co_u32_e32 v6, vcc, s0, v4
	v_addc_co_u32_e32 v7, vcc, v7, v5, vcc
	global_load_ubyte v4, v[6:7], off
	v_lshl_add_u32 v5, v12, 2, 0
	v_cmp_ne_u32_e32 vcc, 0, v10
	s_mov_b64 s[0:1], s[6:7]
                                        ; implicit-def: $sgpr12
	s_waitcnt vmcnt(0)
	ds_write_b32 v5, v4
                                        ; implicit-def: $vgpr4_vgpr5
	s_and_saveexec_b64 s[8:9], vcc
	s_xor_b64 s[8:9], exec, s[8:9]
	s_cbranch_execz .LBB0_24
; %bb.21:
	v_cmp_eq_u32_e32 vcc, s15, v12
	s_mov_b64 s[0:1], s[6:7]
                                        ; implicit-def: $sgpr12
                                        ; implicit-def: $vgpr4_vgpr5
	s_and_saveexec_b64 s[10:11], vcc
	s_xor_b64 s[10:11], exec, s[10:11]
; %bb.22:
	s_lshl_b32 s0, s15, 2
	s_add_i32 s0, s0, 0
	v_add_co_u32_e32 v4, vcc, 1, v6
	s_add_i32 s12, s0, 4
	v_addc_co_u32_e32 v5, vcc, 0, v7, vcc
	s_or_b64 s[0:1], s[6:7], exec
; %bb.23:
	s_or_b64 exec, exec, s[10:11]
	s_andn2_b64 s[10:11], s[6:7], exec
	s_and_b64 s[0:1], s[0:1], exec
	s_or_b64 s[0:1], s[10:11], s[0:1]
                                        ; implicit-def: $vgpr6
.LBB0_24:
	s_or_saveexec_b64 s[8:9], s[8:9]
	v_mov_b32_e32 v13, s12
	s_xor_b64 exec, exec, s[8:9]
; %bb.25:
	v_add_co_u32_e32 v4, vcc, -1, v6
	v_addc_co_u32_e32 v5, vcc, -1, v7, vcc
	v_mov_b32_e32 v13, 0
	s_or_b64 s[0:1], s[0:1], exec
; %bb.26:
	s_or_b64 exec, exec, s[8:9]
	s_andn2_b64 s[6:7], s[6:7], exec
	s_and_b64 s[0:1], s[0:1], exec
	s_or_b64 s[6:7], s[6:7], s[0:1]
	s_or_b64 exec, exec, s[2:3]
	s_and_saveexec_b64 s[0:1], s[6:7]
	s_cbranch_execnz .LBB0_3
	s_branch .LBB0_4
	.section	.rodata,"a",@progbits
	.p2align	6, 0x0
	.amdhsa_kernel _Z15gaussian_kernelPKhPhii
		.amdhsa_group_segment_fixed_size 0
		.amdhsa_private_segment_fixed_size 0
		.amdhsa_kernarg_size 280
		.amdhsa_user_sgpr_count 6
		.amdhsa_user_sgpr_private_segment_buffer 1
		.amdhsa_user_sgpr_dispatch_ptr 0
		.amdhsa_user_sgpr_queue_ptr 0
		.amdhsa_user_sgpr_kernarg_segment_ptr 1
		.amdhsa_user_sgpr_dispatch_id 0
		.amdhsa_user_sgpr_flat_scratch_init 0
		.amdhsa_user_sgpr_kernarg_preload_length 0
		.amdhsa_user_sgpr_kernarg_preload_offset 0
		.amdhsa_user_sgpr_private_segment_size 0
		.amdhsa_uses_dynamic_stack 0
		.amdhsa_system_sgpr_private_segment_wavefront_offset 0
		.amdhsa_system_sgpr_workgroup_id_x 1
		.amdhsa_system_sgpr_workgroup_id_y 1
		.amdhsa_system_sgpr_workgroup_id_z 0
		.amdhsa_system_sgpr_workgroup_info 0
		.amdhsa_system_vgpr_workitem_id 1
		.amdhsa_next_free_vgpr 14
		.amdhsa_next_free_sgpr 19
		.amdhsa_accum_offset 16
		.amdhsa_reserve_vcc 1
		.amdhsa_reserve_flat_scratch 0
		.amdhsa_float_round_mode_32 0
		.amdhsa_float_round_mode_16_64 0
		.amdhsa_float_denorm_mode_32 3
		.amdhsa_float_denorm_mode_16_64 3
		.amdhsa_dx10_clamp 1
		.amdhsa_ieee_mode 1
		.amdhsa_fp16_overflow 0
		.amdhsa_tg_split 0
		.amdhsa_exception_fp_ieee_invalid_op 0
		.amdhsa_exception_fp_denorm_src 0
		.amdhsa_exception_fp_ieee_div_zero 0
		.amdhsa_exception_fp_ieee_overflow 0
		.amdhsa_exception_fp_ieee_underflow 0
		.amdhsa_exception_fp_ieee_inexact 0
		.amdhsa_exception_int_div_zero 0
	.end_amdhsa_kernel
	.text
.Lfunc_end0:
	.size	_Z15gaussian_kernelPKhPhii, .Lfunc_end0-_Z15gaussian_kernelPKhPhii
                                        ; -- End function
	.section	.AMDGPU.csdata,"",@progbits
; Kernel info:
; codeLenInByte = 1040
; NumSgprs: 23
; NumVgprs: 14
; NumAgprs: 0
; TotalNumVgprs: 14
; ScratchSize: 0
; MemoryBound: 0
; FloatMode: 240
; IeeeMode: 1
; LDSByteSize: 0 bytes/workgroup (compile time only)
; SGPRBlocks: 2
; VGPRBlocks: 1
; NumSGPRsForWavesPerEU: 23
; NumVGPRsForWavesPerEU: 14
; AccumOffset: 16
; Occupancy: 8
; WaveLimiterHint : 0
; COMPUTE_PGM_RSRC2:SCRATCH_EN: 0
; COMPUTE_PGM_RSRC2:USER_SGPR: 6
; COMPUTE_PGM_RSRC2:TRAP_HANDLER: 0
; COMPUTE_PGM_RSRC2:TGID_X_EN: 1
; COMPUTE_PGM_RSRC2:TGID_Y_EN: 1
; COMPUTE_PGM_RSRC2:TGID_Z_EN: 0
; COMPUTE_PGM_RSRC2:TIDIG_COMP_CNT: 1
; COMPUTE_PGM_RSRC3_GFX90A:ACCUM_OFFSET: 3
; COMPUTE_PGM_RSRC3_GFX90A:TG_SPLIT: 0
	.text
	.protected	_Z12sobel_kernelPKhPhS1_ii ; -- Begin function _Z12sobel_kernelPKhPhS1_ii
	.globl	_Z12sobel_kernelPKhPhS1_ii
	.p2align	8
	.type	_Z12sobel_kernelPKhPhS1_ii,@function
_Z12sobel_kernelPKhPhS1_ii:             ; @_Z12sobel_kernelPKhPhS1_ii
; %bb.0:
	s_load_dwordx2 s[0:1], s[4:5], 0x0
	s_load_dword s15, s[4:5], 0x1c
	s_load_dword s2, s[4:5], 0x2c
	v_bfe_u32 v9, v0, 10, 10
	v_add_u32_e32 v6, 1, v9
	v_and_b32_e32 v10, 0x3ff, v0
	v_add_u32_e32 v12, 1, v10
	s_waitcnt lgkmcnt(0)
	s_lshr_b32 s3, s2, 16
	s_mul_i32 s7, s7, s3
	s_and_b32 s14, s2, 0xffff
	v_add_u32_e32 v0, s7, v6
	s_mul_i32 s6, s6, s14
	v_mul_lo_u32 v0, v0, s15
	v_add3_u32 v0, s6, v12, v0
	v_ashrrev_i32_e32 v1, 31, v0
	v_mov_b32_e32 v3, s1
	v_add_co_u32_e32 v2, vcc, s0, v0
	v_addc_co_u32_e32 v3, vcc, v3, v1, vcc
	global_load_ubyte v4, v[2:3], off
	s_add_i32 s16, s14, 2
	v_mul_u32_u24_e32 v8, s16, v6
	v_lshl_add_u32 v11, v8, 2, 0
	v_cmp_ne_u32_e32 vcc, 0, v9
	v_lshl_add_u32 v5, v12, 2, v11
	s_mov_b64 s[6:7], 0
                                        ; implicit-def: $vgpr13
	s_waitcnt vmcnt(0)
	ds_write_b32 v5, v4
                                        ; implicit-def: $vgpr4_vgpr5
	s_and_saveexec_b64 s[2:3], vcc
	s_xor_b64 s[2:3], exec, s[2:3]
	s_cbranch_execnz .LBB1_46
; %bb.1:
	s_andn2_saveexec_b64 s[2:3], s[2:3]
	s_cbranch_execnz .LBB1_55
.LBB1_2:
	s_or_b64 exec, exec, s[2:3]
	s_and_saveexec_b64 s[0:1], s[6:7]
	s_cbranch_execz .LBB1_4
.LBB1_3:
	global_load_ubyte v4, v[4:5], off
	s_waitcnt vmcnt(0)
	ds_write_b32 v13, v4
.LBB1_4:
	s_or_b64 exec, exec, s[0:1]
	s_load_dwordx2 s[0:1], s[4:5], 0x8
	v_cmp_ne_u32_e32 vcc, 0, v10
	s_mov_b64 s[6:7], -1
	v_pk_mov_b32 v[4:5], -1, -1
	s_and_saveexec_b64 s[2:3], vcc
	s_cbranch_execz .LBB1_8
; %bb.5:
	v_cmp_eq_u32_e32 vcc, s14, v12
	s_mov_b64 s[6:7], 0
	v_pk_mov_b32 v[4:5], -1, -1
	s_and_saveexec_b64 s[8:9], vcc
; %bb.6:
	s_lshl_b32 s10, s14, 2
	v_mov_b32_e32 v4, 1
	s_mov_b64 s[6:7], exec
	v_add3_u32 v11, v11, s10, 4
	v_mov_b32_e32 v5, 0
; %bb.7:
	s_or_b64 exec, exec, s[8:9]
	s_orn2_b64 s[6:7], s[6:7], exec
.LBB1_8:
	s_or_b64 exec, exec, s[2:3]
	s_and_saveexec_b64 s[2:3], s[6:7]
	s_cbranch_execz .LBB1_10
; %bb.9:
	v_add_co_u32_e32 v2, vcc, v2, v4
	v_addc_co_u32_e32 v3, vcc, v3, v5, vcc
	global_load_ubyte v2, v[2:3], off
	s_waitcnt vmcnt(0)
	ds_write_b32 v11, v2
.LBB1_10:
	s_or_b64 exec, exec, s[2:3]
	v_lshl_add_u32 v10, v10, 2, 0
	v_mul_u32_u24_e32 v2, s16, v9
	s_getpc_b64 s[2:3]
	s_add_u32 s2, s2, c_sobx@rel32@lo+4
	s_addc_u32 s3, s3, c_sobx@rel32@hi+12
	v_lshl_add_u32 v9, v2, 2, v10
	s_load_dwordx4 s[20:23], s[2:3], 0x0
	s_getpc_b64 s[2:3]
	s_add_u32 s2, s2, c_soby@rel32@lo+4
	s_addc_u32 s3, s3, c_soby@rel32@hi+12
	s_waitcnt lgkmcnt(0)
	s_barrier
	ds_read2_b32 v[2:3], v9 offset1:1
	ds_read_b32 v11, v9 offset:8
	s_load_dwordx8 s[8:15], s[2:3], 0x0
	s_getpc_b64 s[2:3]
	s_add_u32 s2, s2, c_soby@rel32@lo+36
	s_addc_u32 s3, s3, c_soby@rel32@hi+44
	v_lshl_add_u32 v8, v8, 2, v10
	s_waitcnt lgkmcnt(0)
	v_mul_lo_u32 v5, v2, s20
	s_load_dword s20, s[2:3], 0x0
	s_getpc_b64 s[2:3]
	s_add_u32 s2, s2, c_sobx@rel32@lo+32
	s_addc_u32 s3, s3, c_sobx@rel32@hi+40
	v_mul_lo_u32 v4, v3, s21
	v_mul_lo_u32 v2, s8, v2
	;; [unrolled: 1-line block ×3, first 2 shown]
	v_lshl_add_u32 v10, s16, 3, v9
	s_getpc_b64 s[6:7]
	s_add_u32 s6, s6, c_sobx@rel32@lo+16
	s_addc_u32 s7, s7, c_sobx@rel32@hi+24
	v_cvt_f32_i32_e32 v6, v5
	v_cvt_f32_i32_e32 v5, v3
	;; [unrolled: 1-line block ×3, first 2 shown]
	ds_read2_b32 v[2:3], v8 offset1:1
	ds_read_b32 v14, v8 offset:8
	ds_read2_b32 v[8:9], v10 offset1:1
	ds_read_b32 v15, v10 offset:8
	v_mul_lo_u32 v10, s22, v11
	v_mul_lo_u32 v11, s10, v11
	s_getpc_b64 s[8:9]
	s_add_u32 s8, s8, c_sobx@rel32@lo+20
	s_addc_u32 s9, s9, c_sobx@rel32@hi+28
	s_load_dwordx2 s[18:19], s[2:3], 0x0
	s_load_dword s10, s[6:7], 0x0
	s_getpc_b64 s[16:17]
	s_add_u32 s16, s16, c_sobx@rel32@lo+24
	s_addc_u32 s17, s17, c_sobx@rel32@hi+32
	s_getpc_b64 s[2:3]
	s_add_u32 s2, s2, c_sobx@rel32@lo+28
	s_addc_u32 s3, s3, c_sobx@rel32@hi+36
	s_load_dword s6, s[8:9], 0x0
	s_load_dword s7, s[16:17], 0x0
	;; [unrolled: 1-line block ×3, first 2 shown]
	v_cvt_f32_i32_e32 v4, v4
	v_cvt_f32_i32_e32 v11, v11
	;; [unrolled: 1-line block ×3, first 2 shown]
	s_waitcnt lgkmcnt(0)
	v_mul_lo_u32 v12, s10, v2
	v_mul_lo_u32 v2, s11, v2
	v_cvt_f32_i32_e32 v13, v2
	v_cvt_f32_i32_e32 v12, v12
	v_mul_lo_u32 v2, s6, v3
	v_mul_lo_u32 v3, s12, v3
	v_cvt_f32_i32_e32 v3, v3
	v_cvt_f32_i32_e32 v2, v2
	v_pk_add_f32 v[4:5], v[6:7], v[4:5]
	v_pk_add_f32 v[4:5], v[4:5], v[10:11]
	;; [unrolled: 1-line block ×4, first 2 shown]
	v_mul_lo_u32 v4, s7, v14
	v_mul_lo_u32 v5, s13, v14
	v_cvt_f32_i32_e32 v5, v5
	v_cvt_f32_i32_e32 v4, v4
	v_mul_lo_u32 v6, s21, v8
	v_mul_lo_u32 v7, s14, v8
	v_cvt_f32_i32_e32 v7, v7
	v_cvt_f32_i32_e32 v6, v6
	;; [unrolled: 4-line block ×4, first 2 shown]
	v_pk_add_f32 v[2:3], v[2:3], v[4:5]
	v_pk_add_f32 v[2:3], v[2:3], v[6:7]
	;; [unrolled: 1-line block ×4, first 2 shown]
	v_max_f32_e64 v6, |v2|, |v3|
	v_cvt_f64_f32_e32 v[4:5], v6
	v_frexp_exp_i32_f64_e32 v4, v[4:5]
	v_sub_u32_e32 v5, 0, v4
	v_ldexp_f32 v7, |v2|, v5
	v_ldexp_f32 v5, |v3|, v5
	v_mul_f32_e32 v5, v5, v5
	v_fmac_f32_e32 v5, v7, v7
	v_sqrt_f32_e32 v5, v5
	s_mov_b32 s2, 0x7f800000
	v_cmp_neq_f32_e32 vcc, s2, v6
	s_load_dwordx2 s[2:3], s[4:5], 0x10
	v_ldexp_f32 v4, v5, v4
	v_mov_b32_e32 v5, 0x7f800000
	v_cndmask_b32_e32 v4, v5, v4, vcc
	v_cvt_i32_f32_e32 v4, v4
	v_mov_b32_e32 v5, 0xff
	s_movk_i32 s4, 0x204
	v_med3_i32 v7, v4, 0, v5
	v_mov_b32_e32 v5, s1
	v_add_co_u32_e32 v4, vcc, s0, v0
	v_addc_co_u32_e32 v5, vcc, v5, v1, vcc
	global_store_byte v[4:5], v7, off
	v_frexp_mant_f32_e32 v5, v6
	v_rcp_f32_e32 v5, v5
	v_min_f32_e64 v4, |v2|, |v3|
	v_frexp_exp_i32_f32_e32 v6, v6
	v_frexp_exp_i32_f32_e32 v7, v4
	v_frexp_mant_f32_e32 v4, v4
	v_mul_f32_e32 v4, v4, v5
	v_sub_u32_e32 v5, v7, v6
	v_ldexp_f32 v4, v4, v5
	v_mul_f32_e32 v5, v4, v4
	v_mov_b32_e32 v6, 0xbc7a590c
	v_fmac_f32_e32 v6, 0x3b2d2a58, v5
	v_mov_b32_e32 v7, 0x3d29fb3f
	v_fmac_f32_e32 v7, v5, v6
	;; [unrolled: 2-line block ×7, first 2 shown]
	v_mul_f32_e32 v5, v5, v6
	v_fmac_f32_e32 v4, v4, v5
	v_sub_f32_e32 v5, 0x3fc90fdb, v4
	v_cmp_gt_f32_e64 vcc, |v3|, |v2|
	v_cndmask_b32_e32 v4, v4, v5, vcc
	v_sub_f32_e32 v5, 0x40490fdb, v4
	v_cmp_gt_f32_e32 vcc, 0, v2
	v_cndmask_b32_e32 v4, v4, v5, vcc
	v_mov_b32_e32 v5, 0x40490fdb
	v_cmp_gt_i32_e64 s[0:1], 0, v2
	v_cndmask_b32_e64 v5, 0, v5, s[0:1]
	v_cmp_eq_f32_e64 s[0:1], 0, v3
	v_cndmask_b32_e64 v4, v4, v5, s[0:1]
	v_mov_b32_e32 v5, 0x3f490fdb
	v_mov_b32_e32 v6, 0x4016cbe4
	v_cmp_class_f32_e64 s[0:1], v2, s4
	v_cmp_class_f32_e64 s[4:5], v3, s4
	v_cndmask_b32_e32 v5, v5, v6, vcc
	s_and_b64 vcc, s[0:1], s[4:5]
	v_cndmask_b32_e32 v4, v4, v5, vcc
	v_mov_b32_e32 v5, 0x7fc00000
	v_cmp_o_f32_e32 vcc, v2, v3
	v_cndmask_b32_e32 v2, v5, v4, vcc
	s_brev_b32 s0, -2
	v_bfi_b32 v2, s0, v2, v3
	v_cmp_gt_f32_e32 vcc, 0, v2
	s_and_saveexec_b64 s[0:1], vcc
	s_cbranch_execz .LBB1_20
; %bb.11:
	s_mov_b32 s6, 0x40c90fdb
	v_add_f32_e32 v2, 0x40c90fdb, v2
	v_cmp_ngt_f32_e64 s[4:5], |v2|, s6
                                        ; implicit-def: $vgpr3
	s_and_saveexec_b64 s[8:9], s[4:5]
	s_xor_b64 s[4:5], exec, s[8:9]
; %bb.12:
	s_brev_b32 s7, -2
	v_bfi_b32 v3, s7, 0, v2
	v_cmp_eq_f32_e64 vcc, |v2|, s6
	v_cndmask_b32_e32 v3, v2, v3, vcc
; %bb.13:
	s_andn2_saveexec_b64 s[4:5], s[4:5]
	s_cbranch_execz .LBB1_19
; %bb.14:
	v_and_b32_e32 v3, 0x7fffffff, v2
	v_cvt_f64_f32_e32 v[4:5], v3
	v_frexp_exp_i32_f64_e32 v5, v[4:5]
	v_frexp_mant_f32_e64 v3, |v2|
	v_add_u32_e32 v4, -3, v5
	v_ldexp_f32 v3, v3, 12
	v_cmp_lt_i32_e32 vcc, 12, v4
	s_and_saveexec_b64 s[6:7], vcc
	s_cbranch_execz .LBB1_18
; %bb.15:
	v_add_u32_e32 v5, 9, v5
	s_mov_b64 s[8:9], 0
.LBB1_16:                               ; =>This Inner Loop Header: Depth=1
	v_mov_b32_e32 v4, v5
	v_mul_f32_e32 v5, 0x3f22f983, v3
	v_rndne_f32_e32 v5, v5
	v_fmac_f32_e32 v3, 0xbfc90fdb, v5
	v_add_f32_e32 v5, 0x3fc90fdb, v3
	v_cmp_gt_f32_e32 vcc, 0, v3
	v_cndmask_b32_e32 v3, v3, v5, vcc
	v_add_u32_e32 v5, -12, v4
	v_cmp_gt_u32_e32 vcc, 25, v5
	s_or_b64 s[8:9], vcc, s[8:9]
	v_ldexp_f32 v3, v3, 12
	s_andn2_b64 exec, exec, s[8:9]
	s_cbranch_execnz .LBB1_16
; %bb.17:
	s_or_b64 exec, exec, s[8:9]
	v_subrev_u32_e32 v4, 24, v4
.LBB1_18:
	s_or_b64 exec, exec, s[6:7]
	v_add_u32_e32 v4, -11, v4
	v_ldexp_f32 v3, v3, v4
	v_mul_f32_e32 v4, 0x3f22f983, v3
	v_rndne_f32_e32 v4, v4
	v_fmac_f32_e32 v3, 0xbfc90fdb, v4
	v_add_f32_e32 v4, 0x3fc90fdb, v3
	v_cmp_gt_f32_e32 vcc, 0, v3
	v_cndmask_b32_e32 v3, v3, v4, vcc
	v_ldexp_f32 v3, v3, 2
	v_and_b32_e32 v4, 0x80000000, v2
	v_xor_b32_e32 v3, v4, v3
.LBB1_19:
	s_or_b64 exec, exec, s[4:5]
	s_movk_i32 s4, 0x1f8
	v_mov_b32_e32 v4, 0x7fc00000
	v_cmp_class_f32_e64 vcc, v2, s4
	v_cndmask_b32_e32 v2, v4, v3, vcc
.LBB1_20:
	s_or_b64 exec, exec, s[0:1]
	s_mov_b32 s0, 0x3ec90fdb
	v_cmp_ge_f32_e32 vcc, s0, v2
	s_and_saveexec_b64 s[0:1], vcc
	s_xor_b64 s[0:1], exec, s[0:1]
	s_cbranch_execz .LBB1_22
; %bb.21:
	s_waitcnt lgkmcnt(0)
	v_mov_b32_e32 v2, s3
	v_add_co_u32_e32 v0, vcc, s2, v0
	v_addc_co_u32_e32 v1, vcc, v2, v1, vcc
	v_mov_b32_e32 v2, 0
	global_store_byte v[0:1], v2, off
                                        ; implicit-def: $vgpr2
                                        ; implicit-def: $vgpr0_vgpr1
.LBB1_22:
	s_andn2_saveexec_b64 s[0:1], s[0:1]
	s_cbranch_execz .LBB1_45
; %bb.23:
	s_mov_b32 s0, 0x3f96cbe4
	v_cmp_ge_f32_e32 vcc, s0, v2
	s_and_saveexec_b64 s[0:1], vcc
	s_xor_b64 s[0:1], exec, s[0:1]
	s_cbranch_execz .LBB1_25
; %bb.24:
	s_waitcnt lgkmcnt(0)
	v_mov_b32_e32 v2, s3
	v_add_co_u32_e32 v0, vcc, s2, v0
	v_addc_co_u32_e32 v1, vcc, v2, v1, vcc
	v_mov_b32_e32 v2, 45
	global_store_byte v[0:1], v2, off
                                        ; implicit-def: $vgpr2
                                        ; implicit-def: $vgpr0_vgpr1
.LBB1_25:
	s_andn2_saveexec_b64 s[0:1], s[0:1]
	s_cbranch_execz .LBB1_45
; %bb.26:
	;; [unrolled: 18-line block ×7, first 2 shown]
	s_mov_b32 s0, 0x40bc7edd
	v_cmp_ge_f32_e32 vcc, s0, v2
	s_waitcnt lgkmcnt(0)
	v_mov_b32_e32 v2, s3
	v_add_co_u32_e64 v0, s[0:1], s2, v0
	v_addc_co_u32_e64 v1, s[0:1], v2, v1, s[0:1]
	s_and_saveexec_b64 s[0:1], vcc
	s_xor_b64 s[0:1], exec, s[0:1]
	s_cbranch_execz .LBB1_43
; %bb.42:
	v_mov_b32_e32 v2, 0x87
	global_store_byte v[0:1], v2, off
                                        ; implicit-def: $vgpr0_vgpr1
.LBB1_43:
	s_andn2_saveexec_b64 s[0:1], s[0:1]
	s_cbranch_execz .LBB1_45
; %bb.44:
	v_mov_b32_e32 v2, 0
	global_store_byte v[0:1], v2, off
.LBB1_45:
	s_endpgm
.LBB1_46:
	v_cmp_eq_u32_e32 vcc, s14, v6
	s_mov_b64 s[8:9], 0
                                        ; implicit-def: $vgpr13
                                        ; implicit-def: $vgpr4_vgpr5
	s_and_saveexec_b64 s[6:7], vcc
	s_cbranch_execz .LBB1_54
; %bb.47:
	s_ashr_i32 s8, s15, 31
	v_mov_b32_e32 v4, s8
	v_add_co_u32_e32 v6, vcc, s15, v2
	v_addc_co_u32_e32 v7, vcc, v3, v4, vcc
	global_load_ubyte v4, v[6:7], off
	s_add_i32 s8, s14, 1
	s_mul_i32 s8, s8, s16
	s_lshl_b32 s8, s8, 2
	s_add_i32 s17, s8, 0
	v_cmp_ne_u32_e32 vcc, 0, v10
	v_lshl_add_u32 v5, v12, 2, s17
	s_mov_b64 s[8:9], 0
                                        ; implicit-def: $sgpr18
	s_waitcnt vmcnt(0)
	ds_write_b32 v5, v4
                                        ; implicit-def: $vgpr4_vgpr5
	s_and_saveexec_b64 s[10:11], vcc
	s_xor_b64 s[10:11], exec, s[10:11]
	s_cbranch_execz .LBB1_51
; %bb.48:
	v_cmp_eq_u32_e32 vcc, s14, v12
                                        ; implicit-def: $sgpr18
                                        ; implicit-def: $vgpr4_vgpr5
	s_and_saveexec_b64 s[12:13], vcc
	s_xor_b64 s[12:13], exec, s[12:13]
; %bb.49:
	s_lshl_b32 s18, s14, 2
	s_add_i32 s18, s17, s18
	v_add_co_u32_e32 v4, vcc, 1, v6
	s_mov_b64 s[8:9], exec
	s_add_i32 s18, s18, 4
	v_addc_co_u32_e32 v5, vcc, 0, v7, vcc
; %bb.50:
	s_or_b64 exec, exec, s[12:13]
	s_and_b64 s[8:9], s[8:9], exec
                                        ; implicit-def: $vgpr6
.LBB1_51:
	s_or_saveexec_b64 s[10:11], s[10:11]
	v_mov_b32_e32 v13, s18
	s_xor_b64 exec, exec, s[10:11]
; %bb.52:
	v_add_co_u32_e32 v4, vcc, -1, v6
	v_addc_co_u32_e32 v5, vcc, -1, v7, vcc
	v_mov_b32_e32 v13, s17
	s_or_b64 s[8:9], s[8:9], exec
; %bb.53:
	s_or_b64 exec, exec, s[10:11]
	s_and_b64 s[8:9], s[8:9], exec
.LBB1_54:
	s_or_b64 exec, exec, s[6:7]
	s_and_b64 s[6:7], s[8:9], exec
	s_andn2_saveexec_b64 s[2:3], s[2:3]
	s_cbranch_execz .LBB1_2
.LBB1_55:
	v_subrev_u32_e32 v4, s15, v0
	v_ashrrev_i32_e32 v5, 31, v4
	v_mov_b32_e32 v7, s1
	v_add_co_u32_e32 v6, vcc, s0, v4
	v_addc_co_u32_e32 v7, vcc, v7, v5, vcc
	global_load_ubyte v4, v[6:7], off
	v_lshl_add_u32 v5, v12, 2, 0
	v_cmp_ne_u32_e32 vcc, 0, v10
	s_mov_b64 s[0:1], s[6:7]
                                        ; implicit-def: $sgpr12
	s_waitcnt vmcnt(0)
	ds_write_b32 v5, v4
                                        ; implicit-def: $vgpr4_vgpr5
	s_and_saveexec_b64 s[8:9], vcc
	s_xor_b64 s[8:9], exec, s[8:9]
	s_cbranch_execz .LBB1_59
; %bb.56:
	v_cmp_eq_u32_e32 vcc, s14, v12
	s_mov_b64 s[0:1], s[6:7]
                                        ; implicit-def: $sgpr12
                                        ; implicit-def: $vgpr4_vgpr5
	s_and_saveexec_b64 s[10:11], vcc
	s_xor_b64 s[10:11], exec, s[10:11]
; %bb.57:
	s_lshl_b32 s0, s14, 2
	s_add_i32 s0, s0, 0
	v_add_co_u32_e32 v4, vcc, 1, v6
	s_add_i32 s12, s0, 4
	v_addc_co_u32_e32 v5, vcc, 0, v7, vcc
	s_or_b64 s[0:1], s[6:7], exec
; %bb.58:
	s_or_b64 exec, exec, s[10:11]
	s_andn2_b64 s[10:11], s[6:7], exec
	s_and_b64 s[0:1], s[0:1], exec
	s_or_b64 s[0:1], s[10:11], s[0:1]
                                        ; implicit-def: $vgpr6
.LBB1_59:
	s_or_saveexec_b64 s[8:9], s[8:9]
	v_mov_b32_e32 v13, s12
	s_xor_b64 exec, exec, s[8:9]
; %bb.60:
	v_add_co_u32_e32 v4, vcc, -1, v6
	v_addc_co_u32_e32 v5, vcc, -1, v7, vcc
	v_mov_b32_e32 v13, 0
	s_or_b64 s[0:1], s[0:1], exec
; %bb.61:
	s_or_b64 exec, exec, s[8:9]
	s_andn2_b64 s[6:7], s[6:7], exec
	s_and_b64 s[0:1], s[0:1], exec
	s_or_b64 s[6:7], s[6:7], s[0:1]
	s_or_b64 exec, exec, s[2:3]
	s_and_saveexec_b64 s[0:1], s[6:7]
	s_cbranch_execnz .LBB1_3
	s_branch .LBB1_4
	.section	.rodata,"a",@progbits
	.p2align	6, 0x0
	.amdhsa_kernel _Z12sobel_kernelPKhPhS1_ii
		.amdhsa_group_segment_fixed_size 0
		.amdhsa_private_segment_fixed_size 0
		.amdhsa_kernarg_size 288
		.amdhsa_user_sgpr_count 6
		.amdhsa_user_sgpr_private_segment_buffer 1
		.amdhsa_user_sgpr_dispatch_ptr 0
		.amdhsa_user_sgpr_queue_ptr 0
		.amdhsa_user_sgpr_kernarg_segment_ptr 1
		.amdhsa_user_sgpr_dispatch_id 0
		.amdhsa_user_sgpr_flat_scratch_init 0
		.amdhsa_user_sgpr_kernarg_preload_length 0
		.amdhsa_user_sgpr_kernarg_preload_offset 0
		.amdhsa_user_sgpr_private_segment_size 0
		.amdhsa_uses_dynamic_stack 0
		.amdhsa_system_sgpr_private_segment_wavefront_offset 0
		.amdhsa_system_sgpr_workgroup_id_x 1
		.amdhsa_system_sgpr_workgroup_id_y 1
		.amdhsa_system_sgpr_workgroup_id_z 0
		.amdhsa_system_sgpr_workgroup_info 0
		.amdhsa_system_vgpr_workitem_id 1
		.amdhsa_next_free_vgpr 16
		.amdhsa_next_free_sgpr 24
		.amdhsa_accum_offset 16
		.amdhsa_reserve_vcc 1
		.amdhsa_reserve_flat_scratch 0
		.amdhsa_float_round_mode_32 0
		.amdhsa_float_round_mode_16_64 0
		.amdhsa_float_denorm_mode_32 3
		.amdhsa_float_denorm_mode_16_64 3
		.amdhsa_dx10_clamp 1
		.amdhsa_ieee_mode 1
		.amdhsa_fp16_overflow 0
		.amdhsa_tg_split 0
		.amdhsa_exception_fp_ieee_invalid_op 0
		.amdhsa_exception_fp_denorm_src 0
		.amdhsa_exception_fp_ieee_div_zero 0
		.amdhsa_exception_fp_ieee_overflow 0
		.amdhsa_exception_fp_ieee_underflow 0
		.amdhsa_exception_fp_ieee_inexact 0
		.amdhsa_exception_int_div_zero 0
	.end_amdhsa_kernel
	.text
.Lfunc_end1:
	.size	_Z12sobel_kernelPKhPhS1_ii, .Lfunc_end1-_Z12sobel_kernelPKhPhS1_ii
                                        ; -- End function
	.section	.AMDGPU.csdata,"",@progbits
; Kernel info:
; codeLenInByte = 2580
; NumSgprs: 28
; NumVgprs: 16
; NumAgprs: 0
; TotalNumVgprs: 16
; ScratchSize: 0
; MemoryBound: 0
; FloatMode: 240
; IeeeMode: 1
; LDSByteSize: 0 bytes/workgroup (compile time only)
; SGPRBlocks: 3
; VGPRBlocks: 1
; NumSGPRsForWavesPerEU: 28
; NumVGPRsForWavesPerEU: 16
; AccumOffset: 16
; Occupancy: 8
; WaveLimiterHint : 0
; COMPUTE_PGM_RSRC2:SCRATCH_EN: 0
; COMPUTE_PGM_RSRC2:USER_SGPR: 6
; COMPUTE_PGM_RSRC2:TRAP_HANDLER: 0
; COMPUTE_PGM_RSRC2:TGID_X_EN: 1
; COMPUTE_PGM_RSRC2:TGID_Y_EN: 1
; COMPUTE_PGM_RSRC2:TGID_Z_EN: 0
; COMPUTE_PGM_RSRC2:TIDIG_COMP_CNT: 1
; COMPUTE_PGM_RSRC3_GFX90A:ACCUM_OFFSET: 3
; COMPUTE_PGM_RSRC3_GFX90A:TG_SPLIT: 0
	.text
	.protected	_Z19non_max_supp_kernelPKhPhS0_ii ; -- Begin function _Z19non_max_supp_kernelPKhPhS0_ii
	.globl	_Z19non_max_supp_kernelPKhPhS0_ii
	.p2align	8
	.type	_Z19non_max_supp_kernelPKhPhS0_ii,@function
_Z19non_max_supp_kernelPKhPhS0_ii:      ; @_Z19non_max_supp_kernelPKhPhS0_ii
; %bb.0:
	s_load_dwordx2 s[0:1], s[4:5], 0x0
	s_load_dword s16, s[4:5], 0x1c
	s_load_dword s2, s[4:5], 0x2c
	v_bfe_u32 v10, v0, 10, 10
	v_add_u32_e32 v6, 1, v10
	v_and_b32_e32 v9, 0x3ff, v0
	v_add_u32_e32 v8, 1, v9
	s_waitcnt lgkmcnt(0)
	s_lshr_b32 s3, s2, 16
	s_mul_i32 s7, s7, s3
	s_and_b32 s15, s2, 0xffff
	v_add_u32_e32 v0, s7, v6
	s_mul_i32 s6, s6, s15
	v_mul_lo_u32 v0, v0, s16
	v_add3_u32 v0, s6, v8, v0
	v_ashrrev_i32_e32 v1, 31, v0
	v_mov_b32_e32 v3, s1
	v_add_co_u32_e32 v2, vcc, s0, v0
	v_addc_co_u32_e32 v3, vcc, v3, v1, vcc
	global_load_ubyte v4, v[2:3], off
	s_add_i32 s14, s15, 2
	v_mul_u32_u24_e32 v5, s14, v6
	v_lshl_add_u32 v11, v5, 2, 0
	v_cmp_ne_u32_e32 vcc, 0, v10
	v_lshl_add_u32 v12, v8, 2, v11
	s_mov_b64 s[6:7], 0
                                        ; implicit-def: $vgpr13
	s_waitcnt vmcnt(0)
	ds_write_b32 v12, v4
                                        ; implicit-def: $vgpr4_vgpr5
	s_and_saveexec_b64 s[2:3], vcc
	s_xor_b64 s[2:3], exec, s[2:3]
	s_cbranch_execnz .LBB2_15
; %bb.1:
	s_andn2_saveexec_b64 s[2:3], s[2:3]
	s_cbranch_execnz .LBB2_24
.LBB2_2:
	s_or_b64 exec, exec, s[2:3]
	s_and_saveexec_b64 s[0:1], s[6:7]
	s_cbranch_execz .LBB2_4
.LBB2_3:
	global_load_ubyte v4, v[4:5], off
	s_waitcnt vmcnt(0)
	ds_write_b32 v13, v4
.LBB2_4:
	s_or_b64 exec, exec, s[0:1]
	v_cmp_ne_u32_e32 vcc, 0, v9
	s_mov_b64 s[6:7], -1
	v_pk_mov_b32 v[4:5], -1, -1
	v_mov_b32_e32 v6, v11
	s_and_saveexec_b64 s[0:1], vcc
	s_cbranch_execz .LBB2_8
; %bb.5:
	v_cmp_eq_u32_e32 vcc, s15, v8
	s_mov_b64 s[2:3], 0
	v_pk_mov_b32 v[4:5], -1, -1
                                        ; implicit-def: $vgpr6
	s_and_saveexec_b64 s[6:7], vcc
; %bb.6:
	s_lshl_b32 s8, s15, 2
	v_mov_b32_e32 v4, 1
	s_mov_b64 s[2:3], exec
	v_add3_u32 v6, v11, s8, 4
	v_mov_b32_e32 v5, 0
; %bb.7:
	s_or_b64 exec, exec, s[6:7]
	s_orn2_b64 s[6:7], s[2:3], exec
.LBB2_8:
	s_or_b64 exec, exec, s[0:1]
	s_load_dwordx4 s[0:3], s[4:5], 0x8
	s_and_saveexec_b64 s[4:5], s[6:7]
	s_cbranch_execz .LBB2_10
; %bb.9:
	v_add_co_u32_e32 v2, vcc, v2, v4
	v_addc_co_u32_e32 v3, vcc, v3, v5, vcc
	global_load_ubyte v2, v[2:3], off
	s_waitcnt vmcnt(0)
	ds_write_b32 v6, v2
.LBB2_10:
	s_or_b64 exec, exec, s[4:5]
	s_waitcnt lgkmcnt(0)
	v_mov_b32_e32 v3, s3
	v_add_co_u32_e32 v2, vcc, s2, v0
	v_addc_co_u32_e32 v3, vcc, v3, v1, vcc
	s_barrier
	global_load_ubyte v5, v[2:3], off
	ds_read_b32 v2, v12
	s_movk_i32 s2, 0x59
                                        ; implicit-def: $vgpr3
                                        ; implicit-def: $vgpr4
	s_waitcnt lgkmcnt(0)
	v_and_b32_e32 v2, 0xff, v2
	s_waitcnt vmcnt(0)
	v_cmp_lt_i16_e32 vcc, s2, v5
	s_mov_b64 s[2:3], 0
	s_and_saveexec_b64 s[4:5], vcc
	s_xor_b64 s[4:5], exec, s[4:5]
	s_cbranch_execnz .LBB2_31
; %bb.11:
	s_andn2_saveexec_b64 s[4:5], s[4:5]
	s_cbranch_execnz .LBB2_44
.LBB2_12:
	s_or_b64 exec, exec, s[4:5]
	s_and_saveexec_b64 s[4:5], s[2:3]
	s_cbranch_execz .LBB2_14
.LBB2_13:
	ds_read_b32 v3, v3
	s_waitcnt lgkmcnt(0)
	v_cmp_gt_i32_e32 vcc, v2, v3
	v_cndmask_b32_e32 v4, 0, v2, vcc
.LBB2_14:
	s_or_b64 exec, exec, s[4:5]
	v_mov_b32_e32 v2, s1
	v_add_co_u32_e32 v0, vcc, s0, v0
	v_addc_co_u32_e32 v1, vcc, v2, v1, vcc
	global_store_byte v[0:1], v4, off
	s_endpgm
.LBB2_15:
	v_cmp_eq_u32_e32 vcc, s15, v6
	s_mov_b64 s[8:9], 0
                                        ; implicit-def: $vgpr13
                                        ; implicit-def: $vgpr4_vgpr5
	s_and_saveexec_b64 s[6:7], vcc
	s_cbranch_execz .LBB2_23
; %bb.16:
	s_ashr_i32 s8, s16, 31
	v_mov_b32_e32 v4, s8
	v_add_co_u32_e32 v6, vcc, s16, v2
	v_addc_co_u32_e32 v7, vcc, v3, v4, vcc
	global_load_ubyte v4, v[6:7], off
	s_add_i32 s8, s15, 1
	s_mul_i32 s8, s8, s14
	s_lshl_b32 s8, s8, 2
	s_add_i32 s17, s8, 0
	v_cmp_ne_u32_e32 vcc, 0, v9
	v_lshl_add_u32 v5, v8, 2, s17
	s_mov_b64 s[8:9], 0
                                        ; implicit-def: $sgpr18
	s_waitcnt vmcnt(0)
	ds_write_b32 v5, v4
                                        ; implicit-def: $vgpr4_vgpr5
	s_and_saveexec_b64 s[10:11], vcc
	s_xor_b64 s[10:11], exec, s[10:11]
	s_cbranch_execz .LBB2_20
; %bb.17:
	v_cmp_eq_u32_e32 vcc, s15, v8
                                        ; implicit-def: $sgpr18
                                        ; implicit-def: $vgpr4_vgpr5
	s_and_saveexec_b64 s[12:13], vcc
	s_xor_b64 s[12:13], exec, s[12:13]
; %bb.18:
	s_lshl_b32 s18, s15, 2
	s_add_i32 s18, s17, s18
	v_add_co_u32_e32 v4, vcc, 1, v6
	s_mov_b64 s[8:9], exec
	s_add_i32 s18, s18, 4
	v_addc_co_u32_e32 v5, vcc, 0, v7, vcc
; %bb.19:
	s_or_b64 exec, exec, s[12:13]
	s_and_b64 s[8:9], s[8:9], exec
                                        ; implicit-def: $vgpr6
.LBB2_20:
	s_or_saveexec_b64 s[10:11], s[10:11]
	v_mov_b32_e32 v13, s18
	s_xor_b64 exec, exec, s[10:11]
; %bb.21:
	v_add_co_u32_e32 v4, vcc, -1, v6
	v_addc_co_u32_e32 v5, vcc, -1, v7, vcc
	v_mov_b32_e32 v13, s17
	s_or_b64 s[8:9], s[8:9], exec
; %bb.22:
	s_or_b64 exec, exec, s[10:11]
	s_and_b64 s[8:9], s[8:9], exec
.LBB2_23:
	s_or_b64 exec, exec, s[6:7]
	s_and_b64 s[6:7], s[8:9], exec
	s_andn2_saveexec_b64 s[2:3], s[2:3]
	s_cbranch_execz .LBB2_2
.LBB2_24:
	v_subrev_u32_e32 v4, s16, v0
	v_ashrrev_i32_e32 v5, 31, v4
	v_mov_b32_e32 v7, s1
	v_add_co_u32_e32 v6, vcc, s0, v4
	v_addc_co_u32_e32 v7, vcc, v7, v5, vcc
	global_load_ubyte v4, v[6:7], off
	v_lshl_add_u32 v5, v8, 2, 0
	v_cmp_ne_u32_e32 vcc, 0, v9
	s_mov_b64 s[0:1], s[6:7]
                                        ; implicit-def: $sgpr12
	s_waitcnt vmcnt(0)
	ds_write_b32 v5, v4
                                        ; implicit-def: $vgpr4_vgpr5
	s_and_saveexec_b64 s[8:9], vcc
	s_xor_b64 s[8:9], exec, s[8:9]
	s_cbranch_execz .LBB2_28
; %bb.25:
	v_cmp_eq_u32_e32 vcc, s15, v8
	s_mov_b64 s[0:1], s[6:7]
                                        ; implicit-def: $sgpr12
                                        ; implicit-def: $vgpr4_vgpr5
	s_and_saveexec_b64 s[10:11], vcc
	s_xor_b64 s[10:11], exec, s[10:11]
; %bb.26:
	s_lshl_b32 s0, s15, 2
	s_add_i32 s0, s0, 0
	v_add_co_u32_e32 v4, vcc, 1, v6
	s_add_i32 s12, s0, 4
	v_addc_co_u32_e32 v5, vcc, 0, v7, vcc
	s_or_b64 s[0:1], s[6:7], exec
; %bb.27:
	s_or_b64 exec, exec, s[10:11]
	s_andn2_b64 s[10:11], s[6:7], exec
	s_and_b64 s[0:1], s[0:1], exec
	s_or_b64 s[0:1], s[10:11], s[0:1]
                                        ; implicit-def: $vgpr6
.LBB2_28:
	s_or_saveexec_b64 s[8:9], s[8:9]
	v_mov_b32_e32 v13, s12
	s_xor_b64 exec, exec, s[8:9]
; %bb.29:
	v_add_co_u32_e32 v4, vcc, -1, v6
	v_addc_co_u32_e32 v5, vcc, -1, v7, vcc
	v_mov_b32_e32 v13, 0
	s_or_b64 s[0:1], s[0:1], exec
; %bb.30:
	s_or_b64 exec, exec, s[8:9]
	s_andn2_b64 s[6:7], s[6:7], exec
	s_and_b64 s[0:1], s[0:1], exec
	s_or_b64 s[6:7], s[6:7], s[0:1]
	s_or_b64 exec, exec, s[2:3]
	s_and_saveexec_b64 s[0:1], s[6:7]
	s_cbranch_execnz .LBB2_3
	s_branch .LBB2_4
.LBB2_31:
	s_movk_i32 s2, 0x86
	v_cmp_lt_i16_e32 vcc, s2, v5
	s_mov_b64 s[2:3], 0
                                        ; implicit-def: $vgpr3
                                        ; implicit-def: $vgpr4
	s_and_saveexec_b64 s[6:7], vcc
	s_xor_b64 s[6:7], exec, s[6:7]
	s_cbranch_execz .LBB2_37
; %bb.32:
	s_movk_i32 s2, 0x87
	v_cmp_eq_u16_e32 vcc, s2, v5
	s_mov_b64 s[8:9], 0
	v_mov_b32_e32 v4, v2
                                        ; implicit-def: $vgpr3
	s_and_saveexec_b64 s[2:3], vcc
	s_cbranch_execz .LBB2_36
; %bb.33:
	v_mul_u32_u24_e32 v3, s14, v10
	v_lshl_add_u32 v4, v3, 2, 0
	v_lshl_add_u32 v3, v9, 2, v4
	ds_read_b32 v3, v3
	s_waitcnt lgkmcnt(0)
	v_cmp_gt_i32_e32 vcc, v2, v3
                                        ; implicit-def: $vgpr3
	s_and_saveexec_b64 s[10:11], vcc
	s_xor_b64 s[10:11], exec, s[10:11]
; %bb.34:
	v_lshl_add_u32 v3, s14, 3, v4
	v_lshlrev_b32_e32 v4, 2, v8
	s_mov_b64 s[8:9], exec
	v_add3_u32 v3, v3, v4, 4
; %bb.35:
	s_or_b64 exec, exec, s[10:11]
	v_mov_b32_e32 v4, 0
	s_and_b64 s[8:9], s[8:9], exec
.LBB2_36:
	s_or_b64 exec, exec, s[2:3]
	s_and_b64 s[2:3], s[8:9], exec
                                        ; implicit-def: $vgpr5
                                        ; implicit-def: $vgpr10
                                        ; implicit-def: $vgpr8
.LBB2_37:
	s_andn2_saveexec_b64 s[6:7], s[6:7]
	s_cbranch_execz .LBB2_43
; %bb.38:
	s_movk_i32 s8, 0x5a
	v_cmp_eq_u16_e32 vcc, s8, v5
	s_mov_b64 s[10:11], s[2:3]
	v_mov_b32_e32 v4, v2
                                        ; implicit-def: $vgpr3
	s_and_saveexec_b64 s[8:9], vcc
	s_cbranch_execz .LBB2_42
; %bb.39:
	v_mul_u32_u24_e32 v3, s14, v10
	v_lshl_add_u32 v4, v3, 2, 0
	v_lshl_add_u32 v3, v8, 2, v4
	ds_read_b32 v3, v3
	s_mov_b64 s[10:11], s[2:3]
	s_waitcnt lgkmcnt(0)
	v_cmp_gt_i32_e32 vcc, v2, v3
                                        ; implicit-def: $vgpr3
	s_and_saveexec_b64 s[12:13], vcc
	s_xor_b64 s[12:13], exec, s[12:13]
; %bb.40:
	s_lshl_b32 s10, s14, 3
	v_lshlrev_b32_e32 v3, 2, v8
	v_add3_u32 v3, v4, s10, v3
	s_or_b64 s[10:11], s[2:3], exec
; %bb.41:
	s_or_b64 exec, exec, s[12:13]
	s_andn2_b64 s[12:13], s[2:3], exec
	s_and_b64 s[10:11], s[10:11], exec
	v_mov_b32_e32 v4, 0
	s_or_b64 s[10:11], s[12:13], s[10:11]
.LBB2_42:
	s_or_b64 exec, exec, s[8:9]
	s_andn2_b64 s[2:3], s[2:3], exec
	s_and_b64 s[8:9], s[10:11], exec
	s_or_b64 s[2:3], s[2:3], s[8:9]
.LBB2_43:
	s_or_b64 exec, exec, s[6:7]
	s_and_b64 s[2:3], s[2:3], exec
                                        ; implicit-def: $vgpr5
                                        ; implicit-def: $vgpr12
                                        ; implicit-def: $vgpr9
                                        ; implicit-def: $vgpr11
                                        ; implicit-def: $vgpr10
                                        ; implicit-def: $vgpr8
	s_andn2_saveexec_b64 s[4:5], s[4:5]
	s_cbranch_execz .LBB2_12
.LBB2_44:
	v_cmp_lt_i16_e32 vcc, 44, v5
	s_mov_b64 s[6:7], s[2:3]
                                        ; implicit-def: $vgpr3
                                        ; implicit-def: $vgpr4
	s_and_saveexec_b64 s[8:9], vcc
	s_xor_b64 s[8:9], exec, s[8:9]
	s_cbranch_execz .LBB2_50
; %bb.45:
	v_cmp_eq_u16_e32 vcc, 45, v5
	s_mov_b64 s[10:11], s[2:3]
	v_mov_b32_e32 v4, v2
                                        ; implicit-def: $vgpr3
	s_and_saveexec_b64 s[6:7], vcc
	s_cbranch_execz .LBB2_49
; %bb.46:
	v_mul_u32_u24_e32 v3, s14, v10
	v_lshl_add_u32 v4, v3, 2, 0
	v_lshl_add_u32 v3, v8, 2, v4
	ds_read_b32 v3, v3 offset:4
	s_mov_b64 s[10:11], s[2:3]
	s_waitcnt lgkmcnt(0)
	v_cmp_gt_i32_e32 vcc, v2, v3
                                        ; implicit-def: $vgpr3
	s_and_saveexec_b64 s[12:13], vcc
	s_xor_b64 s[12:13], exec, s[12:13]
; %bb.47:
	s_lshl_b32 s10, s14, 3
	v_lshlrev_b32_e32 v3, 2, v9
	v_add3_u32 v3, v4, s10, v3
	s_or_b64 s[10:11], s[2:3], exec
; %bb.48:
	s_or_b64 exec, exec, s[12:13]
	s_andn2_b64 s[12:13], s[2:3], exec
	s_and_b64 s[10:11], s[10:11], exec
	v_mov_b32_e32 v4, 0
	s_or_b64 s[10:11], s[12:13], s[10:11]
.LBB2_49:
	s_or_b64 exec, exec, s[6:7]
	s_andn2_b64 s[6:7], s[2:3], exec
	s_and_b64 s[10:11], s[10:11], exec
	s_or_b64 s[6:7], s[6:7], s[10:11]
                                        ; implicit-def: $vgpr5
                                        ; implicit-def: $vgpr12
                                        ; implicit-def: $vgpr9
                                        ; implicit-def: $vgpr11
.LBB2_50:
	s_andn2_saveexec_b64 s[8:9], s[8:9]
	s_cbranch_execz .LBB2_56
; %bb.51:
	v_cmp_eq_u16_e32 vcc, 0, v5
	s_mov_b64 s[12:13], s[6:7]
	v_mov_b32_e32 v4, v2
                                        ; implicit-def: $vgpr3
	s_and_saveexec_b64 s[10:11], vcc
	s_cbranch_execz .LBB2_55
; %bb.52:
	ds_read_b32 v3, v12 offset:4
	s_mov_b64 s[12:13], s[6:7]
	s_waitcnt lgkmcnt(0)
	v_cmp_gt_i32_e32 vcc, v2, v3
                                        ; implicit-def: $vgpr3
	s_and_saveexec_b64 s[14:15], vcc
; %bb.53:
	v_lshl_add_u32 v3, v9, 2, v11
	s_or_b64 s[12:13], s[6:7], exec
; %bb.54:
	s_or_b64 exec, exec, s[14:15]
	s_andn2_b64 s[14:15], s[6:7], exec
	s_and_b64 s[12:13], s[12:13], exec
	v_mov_b32_e32 v4, 0
	s_or_b64 s[12:13], s[14:15], s[12:13]
.LBB2_55:
	s_or_b64 exec, exec, s[10:11]
	s_andn2_b64 s[6:7], s[6:7], exec
	s_and_b64 s[10:11], s[12:13], exec
	s_or_b64 s[6:7], s[6:7], s[10:11]
.LBB2_56:
	s_or_b64 exec, exec, s[8:9]
	s_andn2_b64 s[2:3], s[2:3], exec
	s_and_b64 s[6:7], s[6:7], exec
	s_or_b64 s[2:3], s[2:3], s[6:7]
	s_or_b64 exec, exec, s[4:5]
	s_and_saveexec_b64 s[4:5], s[2:3]
	s_cbranch_execnz .LBB2_13
	s_branch .LBB2_14
	.section	.rodata,"a",@progbits
	.p2align	6, 0x0
	.amdhsa_kernel _Z19non_max_supp_kernelPKhPhS0_ii
		.amdhsa_group_segment_fixed_size 0
		.amdhsa_private_segment_fixed_size 0
		.amdhsa_kernarg_size 288
		.amdhsa_user_sgpr_count 6
		.amdhsa_user_sgpr_private_segment_buffer 1
		.amdhsa_user_sgpr_dispatch_ptr 0
		.amdhsa_user_sgpr_queue_ptr 0
		.amdhsa_user_sgpr_kernarg_segment_ptr 1
		.amdhsa_user_sgpr_dispatch_id 0
		.amdhsa_user_sgpr_flat_scratch_init 0
		.amdhsa_user_sgpr_kernarg_preload_length 0
		.amdhsa_user_sgpr_kernarg_preload_offset 0
		.amdhsa_user_sgpr_private_segment_size 0
		.amdhsa_uses_dynamic_stack 0
		.amdhsa_system_sgpr_private_segment_wavefront_offset 0
		.amdhsa_system_sgpr_workgroup_id_x 1
		.amdhsa_system_sgpr_workgroup_id_y 1
		.amdhsa_system_sgpr_workgroup_id_z 0
		.amdhsa_system_sgpr_workgroup_info 0
		.amdhsa_system_vgpr_workitem_id 1
		.amdhsa_next_free_vgpr 14
		.amdhsa_next_free_sgpr 19
		.amdhsa_accum_offset 16
		.amdhsa_reserve_vcc 1
		.amdhsa_reserve_flat_scratch 0
		.amdhsa_float_round_mode_32 0
		.amdhsa_float_round_mode_16_64 0
		.amdhsa_float_denorm_mode_32 3
		.amdhsa_float_denorm_mode_16_64 3
		.amdhsa_dx10_clamp 1
		.amdhsa_ieee_mode 1
		.amdhsa_fp16_overflow 0
		.amdhsa_tg_split 0
		.amdhsa_exception_fp_ieee_invalid_op 0
		.amdhsa_exception_fp_denorm_src 0
		.amdhsa_exception_fp_ieee_div_zero 0
		.amdhsa_exception_fp_ieee_overflow 0
		.amdhsa_exception_fp_ieee_underflow 0
		.amdhsa_exception_fp_ieee_inexact 0
		.amdhsa_exception_int_div_zero 0
	.end_amdhsa_kernel
	.text
.Lfunc_end2:
	.size	_Z19non_max_supp_kernelPKhPhS0_ii, .Lfunc_end2-_Z19non_max_supp_kernelPKhPhS0_ii
                                        ; -- End function
	.section	.AMDGPU.csdata,"",@progbits
; Kernel info:
; codeLenInByte = 1432
; NumSgprs: 23
; NumVgprs: 14
; NumAgprs: 0
; TotalNumVgprs: 14
; ScratchSize: 0
; MemoryBound: 0
; FloatMode: 240
; IeeeMode: 1
; LDSByteSize: 0 bytes/workgroup (compile time only)
; SGPRBlocks: 2
; VGPRBlocks: 1
; NumSGPRsForWavesPerEU: 23
; NumVGPRsForWavesPerEU: 14
; AccumOffset: 16
; Occupancy: 8
; WaveLimiterHint : 0
; COMPUTE_PGM_RSRC2:SCRATCH_EN: 0
; COMPUTE_PGM_RSRC2:USER_SGPR: 6
; COMPUTE_PGM_RSRC2:TRAP_HANDLER: 0
; COMPUTE_PGM_RSRC2:TGID_X_EN: 1
; COMPUTE_PGM_RSRC2:TGID_Y_EN: 1
; COMPUTE_PGM_RSRC2:TGID_Z_EN: 0
; COMPUTE_PGM_RSRC2:TIDIG_COMP_CNT: 1
; COMPUTE_PGM_RSRC3_GFX90A:ACCUM_OFFSET: 3
; COMPUTE_PGM_RSRC3_GFX90A:TG_SPLIT: 0
	.text
	.protected	_Z11hyst_kernelPKhPhii  ; -- Begin function _Z11hyst_kernelPKhPhii
	.globl	_Z11hyst_kernelPKhPhii
	.p2align	8
	.type	_Z11hyst_kernelPKhPhii,@function
_Z11hyst_kernelPKhPhii:                 ; @_Z11hyst_kernelPKhPhii
; %bb.0:
	s_load_dword s8, s[4:5], 0x24
	s_load_dwordx4 s[0:3], s[4:5], 0x0
	s_load_dword s9, s[4:5], 0x14
	v_and_b32_e32 v1, 0x3ff, v0
	v_bfe_u32 v0, v0, 10, 10
	s_waitcnt lgkmcnt(0)
	s_lshr_b32 s5, s8, 16
	s_mul_i32 s7, s7, s5
	s_and_b32 s4, s8, 0xffff
	v_add_u32_e32 v0, s7, v0
	s_mul_i32 s6, s6, s4
	v_mul_lo_u32 v0, s9, v0
	v_add_u32_e32 v1, s6, v1
	v_add_u32_e32 v0, s9, v0
	v_add3_u32 v0, v1, v0, 1
	v_ashrrev_i32_e32 v1, 31, v0
	v_mov_b32_e32 v3, s1
	v_add_co_u32_e32 v2, vcc, s0, v0
	v_addc_co_u32_e32 v3, vcc, v3, v1, vcc
	global_load_ubyte v2, v[2:3], off
	s_movk_i32 s0, 0x46
	s_waitcnt vmcnt(0)
	v_cmp_gt_u16_e32 vcc, s0, v2
	s_and_saveexec_b64 s[0:1], vcc
	s_xor_b64 s[4:5], exec, s[0:1]
	s_cbranch_execnz .LBB3_3
; %bb.1:
	s_andn2_saveexec_b64 s[0:1], s[4:5]
	s_cbranch_execnz .LBB3_12
.LBB3_2:
	s_endpgm
.LBB3_3:
	v_cmp_lt_u16_e32 vcc, 10, v2
	s_and_saveexec_b64 s[0:1], vcc
	s_xor_b64 s[6:7], exec, s[0:1]
	s_cbranch_execz .LBB3_9
; %bb.4:
	v_cmp_gt_u16_e32 vcc, 40, v2
	v_mov_b32_e32 v2, s3
	v_add_co_u32_e64 v0, s[0:1], s2, v0
	v_addc_co_u32_e64 v1, s[0:1], v2, v1, s[0:1]
	s_and_saveexec_b64 s[0:1], vcc
	s_xor_b64 s[0:1], exec, s[0:1]
	s_cbranch_execz .LBB3_6
; %bb.5:
	v_mov_b32_e32 v2, 0
	global_store_byte v[0:1], v2, off
                                        ; implicit-def: $vgpr0_vgpr1
.LBB3_6:
	s_andn2_saveexec_b64 s[0:1], s[0:1]
	s_cbranch_execz .LBB3_8
; %bb.7:
	v_mov_b32_e32 v2, 0xff
	global_store_byte v[0:1], v2, off
.LBB3_8:
	s_or_b64 exec, exec, s[0:1]
                                        ; implicit-def: $vgpr0_vgpr1
.LBB3_9:
	s_andn2_saveexec_b64 s[0:1], s[6:7]
	s_cbranch_execz .LBB3_11
; %bb.10:
	v_mov_b32_e32 v2, s3
	v_add_co_u32_e32 v0, vcc, s2, v0
	v_addc_co_u32_e32 v1, vcc, v2, v1, vcc
	v_mov_b32_e32 v2, 0
	global_store_byte v[0:1], v2, off
.LBB3_11:
	s_or_b64 exec, exec, s[0:1]
                                        ; implicit-def: $vgpr0_vgpr1
	s_andn2_saveexec_b64 s[0:1], s[4:5]
	s_cbranch_execz .LBB3_2
.LBB3_12:
	v_mov_b32_e32 v2, s3
	v_add_co_u32_e32 v0, vcc, s2, v0
	v_addc_co_u32_e32 v1, vcc, v2, v1, vcc
	v_mov_b32_e32 v2, 0xff
	global_store_byte v[0:1], v2, off
	s_endpgm
	.section	.rodata,"a",@progbits
	.p2align	6, 0x0
	.amdhsa_kernel _Z11hyst_kernelPKhPhii
		.amdhsa_group_segment_fixed_size 0
		.amdhsa_private_segment_fixed_size 0
		.amdhsa_kernarg_size 280
		.amdhsa_user_sgpr_count 6
		.amdhsa_user_sgpr_private_segment_buffer 1
		.amdhsa_user_sgpr_dispatch_ptr 0
		.amdhsa_user_sgpr_queue_ptr 0
		.amdhsa_user_sgpr_kernarg_segment_ptr 1
		.amdhsa_user_sgpr_dispatch_id 0
		.amdhsa_user_sgpr_flat_scratch_init 0
		.amdhsa_user_sgpr_kernarg_preload_length 0
		.amdhsa_user_sgpr_kernarg_preload_offset 0
		.amdhsa_user_sgpr_private_segment_size 0
		.amdhsa_uses_dynamic_stack 0
		.amdhsa_system_sgpr_private_segment_wavefront_offset 0
		.amdhsa_system_sgpr_workgroup_id_x 1
		.amdhsa_system_sgpr_workgroup_id_y 1
		.amdhsa_system_sgpr_workgroup_id_z 0
		.amdhsa_system_sgpr_workgroup_info 0
		.amdhsa_system_vgpr_workitem_id 1
		.amdhsa_next_free_vgpr 4
		.amdhsa_next_free_sgpr 10
		.amdhsa_accum_offset 4
		.amdhsa_reserve_vcc 1
		.amdhsa_reserve_flat_scratch 0
		.amdhsa_float_round_mode_32 0
		.amdhsa_float_round_mode_16_64 0
		.amdhsa_float_denorm_mode_32 3
		.amdhsa_float_denorm_mode_16_64 3
		.amdhsa_dx10_clamp 1
		.amdhsa_ieee_mode 1
		.amdhsa_fp16_overflow 0
		.amdhsa_tg_split 0
		.amdhsa_exception_fp_ieee_invalid_op 0
		.amdhsa_exception_fp_denorm_src 0
		.amdhsa_exception_fp_ieee_div_zero 0
		.amdhsa_exception_fp_ieee_overflow 0
		.amdhsa_exception_fp_ieee_underflow 0
		.amdhsa_exception_fp_ieee_inexact 0
		.amdhsa_exception_int_div_zero 0
	.end_amdhsa_kernel
	.text
.Lfunc_end3:
	.size	_Z11hyst_kernelPKhPhii, .Lfunc_end3-_Z11hyst_kernelPKhPhii
                                        ; -- End function
	.section	.AMDGPU.csdata,"",@progbits
; Kernel info:
; codeLenInByte = 320
; NumSgprs: 14
; NumVgprs: 4
; NumAgprs: 0
; TotalNumVgprs: 4
; ScratchSize: 0
; MemoryBound: 0
; FloatMode: 240
; IeeeMode: 1
; LDSByteSize: 0 bytes/workgroup (compile time only)
; SGPRBlocks: 1
; VGPRBlocks: 0
; NumSGPRsForWavesPerEU: 14
; NumVGPRsForWavesPerEU: 4
; AccumOffset: 4
; Occupancy: 8
; WaveLimiterHint : 0
; COMPUTE_PGM_RSRC2:SCRATCH_EN: 0
; COMPUTE_PGM_RSRC2:USER_SGPR: 6
; COMPUTE_PGM_RSRC2:TRAP_HANDLER: 0
; COMPUTE_PGM_RSRC2:TGID_X_EN: 1
; COMPUTE_PGM_RSRC2:TGID_Y_EN: 1
; COMPUTE_PGM_RSRC2:TGID_Z_EN: 0
; COMPUTE_PGM_RSRC2:TIDIG_COMP_CNT: 1
; COMPUTE_PGM_RSRC3_GFX90A:ACCUM_OFFSET: 0
; COMPUTE_PGM_RSRC3_GFX90A:TG_SPLIT: 0
	.text
	.p2alignl 6, 3212836864
	.fill 256, 4, 3212836864
	.protected	c_gaus                  ; @c_gaus
	.type	c_gaus,@object
	.section	.rodata,"a",@progbits
	.globl	c_gaus
	.p2align	4, 0x0
c_gaus:
	.long	0x3d800000                      ; float 0.0625
	.long	0x3e000000                      ; float 0.125
	;; [unrolled: 1-line block ×9, first 2 shown]
	.size	c_gaus, 36

	.protected	c_sobx                  ; @c_sobx
	.type	c_sobx,@object
	.globl	c_sobx
	.p2align	4, 0x0
c_sobx:
	.long	4294967295                      ; 0xffffffff
	.long	0                               ; 0x0
	.long	1                               ; 0x1
	.long	4294967294                      ; 0xfffffffe
	.long	0                               ; 0x0
	.long	2                               ; 0x2
	.long	4294967295                      ; 0xffffffff
	.long	0                               ; 0x0
	.long	1                               ; 0x1
	.size	c_sobx, 36

	.protected	c_soby                  ; @c_soby
	.type	c_soby,@object
	.globl	c_soby
	.p2align	4, 0x0
c_soby:
	.long	4294967295                      ; 0xffffffff
	.long	4294967294                      ; 0xfffffffe
	;; [unrolled: 1-line block ×3, first 2 shown]
	.long	0                               ; 0x0
	.long	0                               ; 0x0
	;; [unrolled: 1-line block ×6, first 2 shown]
	.size	c_soby, 36

	.type	__hip_cuid_1fe0661a206b972e,@object ; @__hip_cuid_1fe0661a206b972e
	.section	.bss,"aw",@nobits
	.globl	__hip_cuid_1fe0661a206b972e
__hip_cuid_1fe0661a206b972e:
	.byte	0                               ; 0x0
	.size	__hip_cuid_1fe0661a206b972e, 1

	.ident	"AMD clang version 19.0.0git (https://github.com/RadeonOpenCompute/llvm-project roc-6.4.0 25133 c7fe45cf4b819c5991fe208aaa96edf142730f1d)"
	.section	".note.GNU-stack","",@progbits
	.addrsig
	.addrsig_sym c_gaus
	.addrsig_sym c_sobx
	.addrsig_sym c_soby
	.addrsig_sym __hip_cuid_1fe0661a206b972e
	.amdgpu_metadata
---
amdhsa.kernels:
  - .agpr_count:     0
    .args:
      - .actual_access:  read_only
        .address_space:  global
        .offset:         0
        .size:           8
        .value_kind:     global_buffer
      - .actual_access:  write_only
        .address_space:  global
        .offset:         8
        .size:           8
        .value_kind:     global_buffer
      - .offset:         16
        .size:           4
        .value_kind:     by_value
      - .offset:         20
        .size:           4
        .value_kind:     by_value
      - .offset:         24
        .size:           4
        .value_kind:     hidden_block_count_x
      - .offset:         28
        .size:           4
        .value_kind:     hidden_block_count_y
      - .offset:         32
        .size:           4
        .value_kind:     hidden_block_count_z
      - .offset:         36
        .size:           2
        .value_kind:     hidden_group_size_x
      - .offset:         38
        .size:           2
        .value_kind:     hidden_group_size_y
      - .offset:         40
        .size:           2
        .value_kind:     hidden_group_size_z
      - .offset:         42
        .size:           2
        .value_kind:     hidden_remainder_x
      - .offset:         44
        .size:           2
        .value_kind:     hidden_remainder_y
      - .offset:         46
        .size:           2
        .value_kind:     hidden_remainder_z
      - .offset:         64
        .size:           8
        .value_kind:     hidden_global_offset_x
      - .offset:         72
        .size:           8
        .value_kind:     hidden_global_offset_y
      - .offset:         80
        .size:           8
        .value_kind:     hidden_global_offset_z
      - .offset:         88
        .size:           2
        .value_kind:     hidden_grid_dims
      - .offset:         144
        .size:           4
        .value_kind:     hidden_dynamic_lds_size
    .group_segment_fixed_size: 0
    .kernarg_segment_align: 8
    .kernarg_segment_size: 280
    .language:       OpenCL C
    .language_version:
      - 2
      - 0
    .max_flat_workgroup_size: 1024
    .name:           _Z15gaussian_kernelPKhPhii
    .private_segment_fixed_size: 0
    .sgpr_count:     23
    .sgpr_spill_count: 0
    .symbol:         _Z15gaussian_kernelPKhPhii.kd
    .uniform_work_group_size: 1
    .uses_dynamic_stack: false
    .vgpr_count:     14
    .vgpr_spill_count: 0
    .wavefront_size: 64
  - .agpr_count:     0
    .args:
      - .actual_access:  read_only
        .address_space:  global
        .offset:         0
        .size:           8
        .value_kind:     global_buffer
      - .actual_access:  write_only
        .address_space:  global
        .offset:         8
        .size:           8
        .value_kind:     global_buffer
      - .actual_access:  write_only
        .address_space:  global
        .offset:         16
        .size:           8
        .value_kind:     global_buffer
      - .offset:         24
        .size:           4
        .value_kind:     by_value
      - .offset:         28
        .size:           4
        .value_kind:     by_value
      - .offset:         32
        .size:           4
        .value_kind:     hidden_block_count_x
      - .offset:         36
        .size:           4
        .value_kind:     hidden_block_count_y
      - .offset:         40
        .size:           4
        .value_kind:     hidden_block_count_z
      - .offset:         44
        .size:           2
        .value_kind:     hidden_group_size_x
      - .offset:         46
        .size:           2
        .value_kind:     hidden_group_size_y
      - .offset:         48
        .size:           2
        .value_kind:     hidden_group_size_z
      - .offset:         50
        .size:           2
        .value_kind:     hidden_remainder_x
      - .offset:         52
        .size:           2
        .value_kind:     hidden_remainder_y
      - .offset:         54
        .size:           2
        .value_kind:     hidden_remainder_z
      - .offset:         72
        .size:           8
        .value_kind:     hidden_global_offset_x
      - .offset:         80
        .size:           8
        .value_kind:     hidden_global_offset_y
      - .offset:         88
        .size:           8
        .value_kind:     hidden_global_offset_z
      - .offset:         96
        .size:           2
        .value_kind:     hidden_grid_dims
      - .offset:         152
        .size:           4
        .value_kind:     hidden_dynamic_lds_size
    .group_segment_fixed_size: 0
    .kernarg_segment_align: 8
    .kernarg_segment_size: 288
    .language:       OpenCL C
    .language_version:
      - 2
      - 0
    .max_flat_workgroup_size: 1024
    .name:           _Z12sobel_kernelPKhPhS1_ii
    .private_segment_fixed_size: 0
    .sgpr_count:     28
    .sgpr_spill_count: 0
    .symbol:         _Z12sobel_kernelPKhPhS1_ii.kd
    .uniform_work_group_size: 1
    .uses_dynamic_stack: false
    .vgpr_count:     16
    .vgpr_spill_count: 0
    .wavefront_size: 64
  - .agpr_count:     0
    .args:
      - .actual_access:  read_only
        .address_space:  global
        .offset:         0
        .size:           8
        .value_kind:     global_buffer
      - .actual_access:  write_only
        .address_space:  global
        .offset:         8
        .size:           8
        .value_kind:     global_buffer
      - .actual_access:  read_only
        .address_space:  global
        .offset:         16
        .size:           8
        .value_kind:     global_buffer
      - .offset:         24
        .size:           4
        .value_kind:     by_value
      - .offset:         28
        .size:           4
        .value_kind:     by_value
      - .offset:         32
        .size:           4
        .value_kind:     hidden_block_count_x
      - .offset:         36
        .size:           4
        .value_kind:     hidden_block_count_y
      - .offset:         40
        .size:           4
        .value_kind:     hidden_block_count_z
      - .offset:         44
        .size:           2
        .value_kind:     hidden_group_size_x
      - .offset:         46
        .size:           2
        .value_kind:     hidden_group_size_y
      - .offset:         48
        .size:           2
        .value_kind:     hidden_group_size_z
      - .offset:         50
        .size:           2
        .value_kind:     hidden_remainder_x
      - .offset:         52
        .size:           2
        .value_kind:     hidden_remainder_y
      - .offset:         54
        .size:           2
        .value_kind:     hidden_remainder_z
      - .offset:         72
        .size:           8
        .value_kind:     hidden_global_offset_x
      - .offset:         80
        .size:           8
        .value_kind:     hidden_global_offset_y
      - .offset:         88
        .size:           8
        .value_kind:     hidden_global_offset_z
      - .offset:         96
        .size:           2
        .value_kind:     hidden_grid_dims
      - .offset:         152
        .size:           4
        .value_kind:     hidden_dynamic_lds_size
    .group_segment_fixed_size: 0
    .kernarg_segment_align: 8
    .kernarg_segment_size: 288
    .language:       OpenCL C
    .language_version:
      - 2
      - 0
    .max_flat_workgroup_size: 1024
    .name:           _Z19non_max_supp_kernelPKhPhS0_ii
    .private_segment_fixed_size: 0
    .sgpr_count:     23
    .sgpr_spill_count: 0
    .symbol:         _Z19non_max_supp_kernelPKhPhS0_ii.kd
    .uniform_work_group_size: 1
    .uses_dynamic_stack: false
    .vgpr_count:     14
    .vgpr_spill_count: 0
    .wavefront_size: 64
  - .agpr_count:     0
    .args:
      - .actual_access:  read_only
        .address_space:  global
        .offset:         0
        .size:           8
        .value_kind:     global_buffer
      - .actual_access:  write_only
        .address_space:  global
        .offset:         8
        .size:           8
        .value_kind:     global_buffer
      - .offset:         16
        .size:           4
        .value_kind:     by_value
      - .offset:         20
        .size:           4
        .value_kind:     by_value
      - .offset:         24
        .size:           4
        .value_kind:     hidden_block_count_x
      - .offset:         28
        .size:           4
        .value_kind:     hidden_block_count_y
      - .offset:         32
        .size:           4
        .value_kind:     hidden_block_count_z
      - .offset:         36
        .size:           2
        .value_kind:     hidden_group_size_x
      - .offset:         38
        .size:           2
        .value_kind:     hidden_group_size_y
      - .offset:         40
        .size:           2
        .value_kind:     hidden_group_size_z
      - .offset:         42
        .size:           2
        .value_kind:     hidden_remainder_x
      - .offset:         44
        .size:           2
        .value_kind:     hidden_remainder_y
      - .offset:         46
        .size:           2
        .value_kind:     hidden_remainder_z
      - .offset:         64
        .size:           8
        .value_kind:     hidden_global_offset_x
      - .offset:         72
        .size:           8
        .value_kind:     hidden_global_offset_y
      - .offset:         80
        .size:           8
        .value_kind:     hidden_global_offset_z
      - .offset:         88
        .size:           2
        .value_kind:     hidden_grid_dims
    .group_segment_fixed_size: 0
    .kernarg_segment_align: 8
    .kernarg_segment_size: 280
    .language:       OpenCL C
    .language_version:
      - 2
      - 0
    .max_flat_workgroup_size: 1024
    .name:           _Z11hyst_kernelPKhPhii
    .private_segment_fixed_size: 0
    .sgpr_count:     14
    .sgpr_spill_count: 0
    .symbol:         _Z11hyst_kernelPKhPhii.kd
    .uniform_work_group_size: 1
    .uses_dynamic_stack: false
    .vgpr_count:     4
    .vgpr_spill_count: 0
    .wavefront_size: 64
amdhsa.target:   amdgcn-amd-amdhsa--gfx90a
amdhsa.version:
  - 1
  - 2
...

	.end_amdgpu_metadata
